;; amdgpu-corpus repo=zjin-lcf/HeCBench kind=compiled arch=gfx90a opt=O3
	.text
	.amdgcn_target "amdgcn-amd-amdhsa--gfx90a"
	.amdhsa_code_object_version 6
	.protected	_Z1kPii                 ; -- Begin function _Z1kPii
	.globl	_Z1kPii
	.p2align	8
	.type	_Z1kPii,@function
_Z1kPii:                                ; @_Z1kPii
; %bb.0:
	s_load_dword s2, s[4:5], 0x8
	s_load_dwordx2 s[0:1], s[4:5], 0x0
	v_mbcnt_lo_u32_b32 v2, -1, 0
	v_mbcnt_hi_u32_b32 v2, -1, v2
	v_lshlrev_b32_e32 v4, 2, v2
	s_waitcnt lgkmcnt(0)
	v_cvt_f32_u32_e32 v1, s2
	s_sub_i32 s3, 0, s2
	v_mov_b32_e32 v3, 0
	v_mov_b32_e32 v5, s1
	v_rcp_iflag_f32_e32 v1, v1
	v_mul_f32_e32 v1, 0x4f7ffffe, v1
	v_cvt_u32_f32_e32 v1, v1
	v_mul_lo_u32 v2, s3, v1
	v_mul_hi_u32 v2, v1, v2
	v_add_u32_e32 v1, v1, v2
	v_mul_hi_u32 v1, v0, v1
	v_mul_lo_u32 v1, v1, s2
	v_sub_u32_e32 v1, v0, v1
	v_subrev_u32_e32 v2, s2, v1
	v_cmp_le_u32_e32 vcc, s2, v1
	v_cndmask_b32_e32 v1, v1, v2, vcc
	v_subrev_u32_e32 v2, s2, v1
	v_cmp_le_u32_e32 vcc, s2, v1
	v_cndmask_b32_e32 v2, v1, v2, vcc
	v_lshlrev_b64 v[2:3], 2, v[2:3]
	v_add_co_u32_e32 v2, vcc, s0, v2
	v_addc_co_u32_e32 v3, vcc, v5, v3, vcc
	v_and_b32_e32 v1, 0x100, v4
	ds_bpermute_b32 v4, v1, v2
	ds_bpermute_b32 v5, v1, v3
	ds_bpermute_b32 v6, v1, v2 offset:4
	ds_bpermute_b32 v7, v1, v3 offset:4
	;; [unrolled: 1-line block ×4, first 2 shown]
	s_waitcnt lgkmcnt(4)
	v_cmp_eq_u64_e32 vcc, v[4:5], v[2:3]
	ds_bpermute_b32 v4, v1, v2 offset:12
	ds_bpermute_b32 v5, v1, v3 offset:12
	v_and_b32_e32 v0, 31, v0
	s_waitcnt lgkmcnt(4)
	v_cmp_eq_u64_e64 s[0:1], v[6:7], v[2:3]
	s_waitcnt lgkmcnt(2)
	v_cmp_eq_u64_e64 s[2:3], v[8:9], v[2:3]
	v_mov_b32_e32 v6, vcc_lo
	v_mov_b32_e32 v7, s0
	v_cmp_eq_u32_e32 vcc, 1, v0
	v_cndmask_b32_e32 v6, v6, v7, vcc
	s_waitcnt lgkmcnt(0)
	v_cmp_eq_u64_e32 vcc, v[4:5], v[2:3]
	v_mov_b32_e32 v7, s2
	ds_bpermute_b32 v4, v1, v2 offset:16
	ds_bpermute_b32 v5, v1, v3 offset:16
	v_cmp_eq_u32_e64 s[0:1], 2, v0
	v_cndmask_b32_e64 v8, v6, v7, s[0:1]
	ds_bpermute_b32 v6, v1, v2 offset:20
	ds_bpermute_b32 v7, v1, v3 offset:20
	s_waitcnt lgkmcnt(2)
	v_cmp_eq_u64_e64 s[0:1], v[4:5], v[2:3]
	v_mov_b32_e32 v4, vcc_lo
	v_cmp_eq_u32_e32 vcc, 3, v0
	v_cndmask_b32_e32 v8, v8, v4, vcc
	s_waitcnt lgkmcnt(0)
	v_cmp_eq_u64_e32 vcc, v[6:7], v[2:3]
	v_mov_b32_e32 v6, s0
	ds_bpermute_b32 v4, v1, v2 offset:24
	ds_bpermute_b32 v5, v1, v3 offset:24
	v_cmp_eq_u32_e64 s[0:1], 4, v0
	v_cndmask_b32_e64 v8, v8, v6, s[0:1]
	ds_bpermute_b32 v6, v1, v2 offset:28
	ds_bpermute_b32 v7, v1, v3 offset:28
	s_waitcnt lgkmcnt(2)
	v_cmp_eq_u64_e64 s[0:1], v[4:5], v[2:3]
	v_mov_b32_e32 v4, vcc_lo
	v_cmp_eq_u32_e32 vcc, 5, v0
	v_cndmask_b32_e32 v8, v8, v4, vcc
	s_waitcnt lgkmcnt(0)
	v_cmp_eq_u64_e32 vcc, v[6:7], v[2:3]
	v_mov_b32_e32 v6, s0
	ds_bpermute_b32 v4, v1, v2 offset:32
	ds_bpermute_b32 v5, v1, v3 offset:32
	v_cmp_eq_u32_e64 s[0:1], 6, v0
	v_cndmask_b32_e64 v8, v8, v6, s[0:1]
	ds_bpermute_b32 v6, v1, v2 offset:36
	ds_bpermute_b32 v7, v1, v3 offset:36
	s_waitcnt lgkmcnt(2)
	v_cmp_eq_u64_e64 s[0:1], v[4:5], v[2:3]
	v_mov_b32_e32 v4, vcc_lo
	v_cmp_eq_u32_e32 vcc, 7, v0
	v_cndmask_b32_e32 v8, v8, v4, vcc
	s_waitcnt lgkmcnt(0)
	v_cmp_eq_u64_e32 vcc, v[6:7], v[2:3]
	v_mov_b32_e32 v6, s0
	ds_bpermute_b32 v4, v1, v2 offset:40
	ds_bpermute_b32 v5, v1, v3 offset:40
	v_cmp_eq_u32_e64 s[0:1], 8, v0
	v_cndmask_b32_e64 v8, v8, v6, s[0:1]
	ds_bpermute_b32 v6, v1, v2 offset:44
	ds_bpermute_b32 v7, v1, v3 offset:44
	s_waitcnt lgkmcnt(2)
	v_cmp_eq_u64_e64 s[0:1], v[4:5], v[2:3]
	v_mov_b32_e32 v4, vcc_lo
	v_cmp_eq_u32_e32 vcc, 9, v0
	v_cndmask_b32_e32 v8, v8, v4, vcc
	s_waitcnt lgkmcnt(0)
	v_cmp_eq_u64_e32 vcc, v[6:7], v[2:3]
	v_mov_b32_e32 v6, s0
	ds_bpermute_b32 v4, v1, v2 offset:48
	ds_bpermute_b32 v5, v1, v3 offset:48
	v_cmp_eq_u32_e64 s[0:1], 10, v0
	v_cndmask_b32_e64 v8, v8, v6, s[0:1]
	ds_bpermute_b32 v6, v1, v2 offset:52
	ds_bpermute_b32 v7, v1, v3 offset:52
	s_waitcnt lgkmcnt(2)
	v_cmp_eq_u64_e64 s[0:1], v[4:5], v[2:3]
	v_mov_b32_e32 v4, vcc_lo
	v_cmp_eq_u32_e32 vcc, 11, v0
	v_cndmask_b32_e32 v8, v8, v4, vcc
	s_waitcnt lgkmcnt(0)
	v_cmp_eq_u64_e32 vcc, v[6:7], v[2:3]
	v_mov_b32_e32 v6, s0
	ds_bpermute_b32 v4, v1, v2 offset:56
	ds_bpermute_b32 v5, v1, v3 offset:56
	v_cmp_eq_u32_e64 s[0:1], 12, v0
	v_cndmask_b32_e64 v8, v8, v6, s[0:1]
	ds_bpermute_b32 v6, v1, v2 offset:60
	ds_bpermute_b32 v7, v1, v3 offset:60
	s_waitcnt lgkmcnt(2)
	v_cmp_eq_u64_e64 s[0:1], v[4:5], v[2:3]
	v_mov_b32_e32 v4, vcc_lo
	v_cmp_eq_u32_e32 vcc, 13, v0
	v_cndmask_b32_e32 v8, v8, v4, vcc
	s_waitcnt lgkmcnt(0)
	v_cmp_eq_u64_e32 vcc, v[6:7], v[2:3]
	v_mov_b32_e32 v6, s0
	ds_bpermute_b32 v4, v1, v2 offset:64
	ds_bpermute_b32 v5, v1, v3 offset:64
	v_cmp_eq_u32_e64 s[0:1], 14, v0
	v_cndmask_b32_e64 v8, v8, v6, s[0:1]
	ds_bpermute_b32 v6, v1, v2 offset:68
	ds_bpermute_b32 v7, v1, v3 offset:68
	s_waitcnt lgkmcnt(2)
	v_cmp_eq_u64_e64 s[0:1], v[4:5], v[2:3]
	v_mov_b32_e32 v4, vcc_lo
	v_cmp_eq_u32_e32 vcc, 15, v0
	v_cndmask_b32_e32 v8, v8, v4, vcc
	s_waitcnt lgkmcnt(0)
	v_cmp_eq_u64_e32 vcc, v[6:7], v[2:3]
	v_mov_b32_e32 v6, s0
	ds_bpermute_b32 v4, v1, v2 offset:72
	ds_bpermute_b32 v5, v1, v3 offset:72
	v_cmp_eq_u32_e64 s[0:1], 16, v0
	v_cndmask_b32_e64 v8, v8, v6, s[0:1]
	ds_bpermute_b32 v6, v1, v2 offset:76
	ds_bpermute_b32 v7, v1, v3 offset:76
	s_waitcnt lgkmcnt(2)
	v_cmp_eq_u64_e64 s[0:1], v[4:5], v[2:3]
	v_mov_b32_e32 v4, vcc_lo
	v_cmp_eq_u32_e32 vcc, 17, v0
	v_cndmask_b32_e32 v8, v8, v4, vcc
	s_waitcnt lgkmcnt(0)
	v_cmp_eq_u64_e32 vcc, v[6:7], v[2:3]
	v_mov_b32_e32 v6, s0
	ds_bpermute_b32 v4, v1, v2 offset:80
	ds_bpermute_b32 v5, v1, v3 offset:80
	v_cmp_eq_u32_e64 s[0:1], 18, v0
	v_cndmask_b32_e64 v8, v8, v6, s[0:1]
	ds_bpermute_b32 v6, v1, v2 offset:84
	ds_bpermute_b32 v7, v1, v3 offset:84
	s_waitcnt lgkmcnt(2)
	v_cmp_eq_u64_e64 s[0:1], v[4:5], v[2:3]
	v_mov_b32_e32 v4, vcc_lo
	v_cmp_eq_u32_e32 vcc, 19, v0
	v_cndmask_b32_e32 v8, v8, v4, vcc
	s_waitcnt lgkmcnt(0)
	v_cmp_eq_u64_e32 vcc, v[6:7], v[2:3]
	v_mov_b32_e32 v6, s0
	ds_bpermute_b32 v4, v1, v2 offset:88
	ds_bpermute_b32 v5, v1, v3 offset:88
	v_cmp_eq_u32_e64 s[0:1], 20, v0
	v_cndmask_b32_e64 v8, v8, v6, s[0:1]
	ds_bpermute_b32 v6, v1, v2 offset:92
	ds_bpermute_b32 v7, v1, v3 offset:92
	s_waitcnt lgkmcnt(2)
	v_cmp_eq_u64_e64 s[0:1], v[4:5], v[2:3]
	v_mov_b32_e32 v4, vcc_lo
	v_cmp_eq_u32_e32 vcc, 21, v0
	v_cndmask_b32_e32 v8, v8, v4, vcc
	s_waitcnt lgkmcnt(0)
	v_cmp_eq_u64_e32 vcc, v[6:7], v[2:3]
	v_mov_b32_e32 v6, s0
	ds_bpermute_b32 v4, v1, v2 offset:96
	ds_bpermute_b32 v5, v1, v3 offset:96
	v_cmp_eq_u32_e64 s[0:1], 22, v0
	v_cndmask_b32_e64 v8, v8, v6, s[0:1]
	ds_bpermute_b32 v6, v1, v2 offset:100
	ds_bpermute_b32 v7, v1, v3 offset:100
	s_waitcnt lgkmcnt(2)
	v_cmp_eq_u64_e64 s[0:1], v[4:5], v[2:3]
	v_mov_b32_e32 v4, vcc_lo
	v_cmp_eq_u32_e32 vcc, 23, v0
	v_cndmask_b32_e32 v8, v8, v4, vcc
	s_waitcnt lgkmcnt(0)
	v_cmp_eq_u64_e32 vcc, v[6:7], v[2:3]
	v_mov_b32_e32 v6, s0
	ds_bpermute_b32 v4, v1, v2 offset:104
	ds_bpermute_b32 v5, v1, v3 offset:104
	v_cmp_eq_u32_e64 s[0:1], 24, v0
	v_cndmask_b32_e64 v8, v8, v6, s[0:1]
	ds_bpermute_b32 v6, v1, v2 offset:108
	ds_bpermute_b32 v7, v1, v3 offset:108
	s_waitcnt lgkmcnt(2)
	v_cmp_eq_u64_e64 s[0:1], v[4:5], v[2:3]
	v_mov_b32_e32 v4, vcc_lo
	v_cmp_eq_u32_e32 vcc, 25, v0
	v_cndmask_b32_e32 v8, v8, v4, vcc
	s_waitcnt lgkmcnt(0)
	v_cmp_eq_u64_e32 vcc, v[6:7], v[2:3]
	v_mov_b32_e32 v6, s0
	ds_bpermute_b32 v4, v1, v2 offset:112
	ds_bpermute_b32 v5, v1, v3 offset:112
	v_cmp_eq_u32_e64 s[0:1], 26, v0
	v_cndmask_b32_e64 v8, v8, v6, s[0:1]
	ds_bpermute_b32 v6, v1, v2 offset:116
	ds_bpermute_b32 v7, v1, v3 offset:116
	s_waitcnt lgkmcnt(2)
	v_cmp_eq_u64_e64 s[0:1], v[4:5], v[2:3]
	v_mov_b32_e32 v4, vcc_lo
	v_cmp_eq_u32_e32 vcc, 27, v0
	v_cndmask_b32_e32 v8, v8, v4, vcc
	s_waitcnt lgkmcnt(0)
	v_cmp_eq_u64_e32 vcc, v[6:7], v[2:3]
	v_mov_b32_e32 v6, s0
	ds_bpermute_b32 v4, v1, v2 offset:120
	ds_bpermute_b32 v5, v1, v3 offset:120
	v_cmp_eq_u32_e64 s[0:1], 28, v0
	v_cndmask_b32_e64 v8, v8, v6, s[0:1]
	ds_bpermute_b32 v6, v1, v2 offset:124
	ds_bpermute_b32 v7, v1, v3 offset:124
	s_waitcnt lgkmcnt(2)
	v_cmp_eq_u64_e64 s[0:1], v[4:5], v[2:3]
	v_mov_b32_e32 v1, vcc_lo
	v_cmp_eq_u32_e32 vcc, 29, v0
	v_cndmask_b32_e32 v1, v8, v1, vcc
	s_waitcnt lgkmcnt(0)
	v_cmp_eq_u64_e32 vcc, v[6:7], v[2:3]
	v_mov_b32_e32 v4, s0
	v_cmp_eq_u32_e64 s[0:1], 30, v0
	v_cndmask_b32_e64 v1, v1, v4, s[0:1]
	v_mov_b32_e32 v4, vcc_lo
	v_cmp_eq_u32_e32 vcc, 31, v0
	v_cndmask_b32_e32 v1, v1, v4, vcc
	v_ffbl_b32_e32 v4, v1
	v_cmp_ne_u32_e32 vcc, 0, v1
	v_cmp_eq_u32_e64 s[0:1], v4, v0
	s_and_b64 s[0:1], vcc, s[0:1]
	s_and_saveexec_b64 s[2:3], s[0:1]
	s_cbranch_execz .LBB0_2
; %bb.1:
	v_bcnt_u32_b32 v0, v1, 0
	global_atomic_add v[2:3], v0, off
.LBB0_2:
	s_endpgm
	.section	.rodata,"a",@progbits
	.p2align	6, 0x0
	.amdhsa_kernel _Z1kPii
		.amdhsa_group_segment_fixed_size 0
		.amdhsa_private_segment_fixed_size 0
		.amdhsa_kernarg_size 12
		.amdhsa_user_sgpr_count 6
		.amdhsa_user_sgpr_private_segment_buffer 1
		.amdhsa_user_sgpr_dispatch_ptr 0
		.amdhsa_user_sgpr_queue_ptr 0
		.amdhsa_user_sgpr_kernarg_segment_ptr 1
		.amdhsa_user_sgpr_dispatch_id 0
		.amdhsa_user_sgpr_flat_scratch_init 0
		.amdhsa_user_sgpr_kernarg_preload_length 0
		.amdhsa_user_sgpr_kernarg_preload_offset 0
		.amdhsa_user_sgpr_private_segment_size 0
		.amdhsa_uses_dynamic_stack 0
		.amdhsa_system_sgpr_private_segment_wavefront_offset 0
		.amdhsa_system_sgpr_workgroup_id_x 1
		.amdhsa_system_sgpr_workgroup_id_y 0
		.amdhsa_system_sgpr_workgroup_id_z 0
		.amdhsa_system_sgpr_workgroup_info 0
		.amdhsa_system_vgpr_workitem_id 0
		.amdhsa_next_free_vgpr 10
		.amdhsa_next_free_sgpr 6
		.amdhsa_accum_offset 12
		.amdhsa_reserve_vcc 1
		.amdhsa_reserve_flat_scratch 0
		.amdhsa_float_round_mode_32 0
		.amdhsa_float_round_mode_16_64 0
		.amdhsa_float_denorm_mode_32 3
		.amdhsa_float_denorm_mode_16_64 3
		.amdhsa_dx10_clamp 1
		.amdhsa_ieee_mode 1
		.amdhsa_fp16_overflow 0
		.amdhsa_tg_split 0
		.amdhsa_exception_fp_ieee_invalid_op 0
		.amdhsa_exception_fp_denorm_src 0
		.amdhsa_exception_fp_ieee_div_zero 0
		.amdhsa_exception_fp_ieee_overflow 0
		.amdhsa_exception_fp_ieee_underflow 0
		.amdhsa_exception_fp_ieee_inexact 0
		.amdhsa_exception_int_div_zero 0
	.end_amdhsa_kernel
	.text
.Lfunc_end0:
	.size	_Z1kPii, .Lfunc_end0-_Z1kPii
                                        ; -- End function
	.section	.AMDGPU.csdata,"",@progbits
; Kernel info:
; codeLenInByte = 1540
; NumSgprs: 10
; NumVgprs: 10
; NumAgprs: 0
; TotalNumVgprs: 10
; ScratchSize: 0
; MemoryBound: 0
; FloatMode: 240
; IeeeMode: 1
; LDSByteSize: 0 bytes/workgroup (compile time only)
; SGPRBlocks: 1
; VGPRBlocks: 1
; NumSGPRsForWavesPerEU: 10
; NumVGPRsForWavesPerEU: 10
; AccumOffset: 12
; Occupancy: 8
; WaveLimiterHint : 0
; COMPUTE_PGM_RSRC2:SCRATCH_EN: 0
; COMPUTE_PGM_RSRC2:USER_SGPR: 6
; COMPUTE_PGM_RSRC2:TRAP_HANDLER: 0
; COMPUTE_PGM_RSRC2:TGID_X_EN: 1
; COMPUTE_PGM_RSRC2:TGID_Y_EN: 0
; COMPUTE_PGM_RSRC2:TGID_Z_EN: 0
; COMPUTE_PGM_RSRC2:TIDIG_COMP_CNT: 0
; COMPUTE_PGM_RSRC3_GFX90A:ACCUM_OFFSET: 2
; COMPUTE_PGM_RSRC3_GFX90A:TG_SPLIT: 0
	.text
	.protected	_Z2k2Pii                ; -- Begin function _Z2k2Pii
	.globl	_Z2k2Pii
	.p2align	8
	.type	_Z2k2Pii,@function
_Z2k2Pii:                               ; @_Z2k2Pii
; %bb.0:
	s_load_dword s2, s[4:5], 0x8
	s_load_dwordx2 s[0:1], s[4:5], 0x0
	v_mbcnt_lo_u32_b32 v2, -1, 0
	v_mbcnt_hi_u32_b32 v5, -1, v2
	v_mov_b32_e32 v3, 0
	s_waitcnt lgkmcnt(0)
	v_cvt_f32_u32_e32 v1, s2
	s_sub_i32 s3, 0, s2
	v_mov_b32_e32 v4, s1
	s_mov_b32 s14, 0
	v_rcp_iflag_f32_e32 v1, v1
	s_mov_b32 s15, 0
	v_mul_f32_e32 v1, 0x4f7ffffe, v1
	v_cvt_u32_f32_e32 v1, v1
	v_mul_lo_u32 v2, s3, v1
	v_mul_hi_u32 v2, v1, v2
	v_add_u32_e32 v1, v1, v2
	v_mul_hi_u32 v1, v0, v1
	v_mul_lo_u32 v1, v1, s2
	v_sub_u32_e32 v1, v0, v1
	v_subrev_u32_e32 v2, s2, v1
	v_cmp_le_u32_e32 vcc, s2, v1
	v_cndmask_b32_e32 v1, v1, v2, vcc
	v_subrev_u32_e32 v2, s2, v1
	v_cmp_le_u32_e32 vcc, s2, v1
	v_cndmask_b32_e32 v2, v1, v2, vcc
	v_lshlrev_b64 v[2:3], 2, v[2:3]
	v_add_co_u32_e32 v2, vcc, s0, v2
	v_addc_co_u32_e32 v3, vcc, v4, v3, vcc
	v_and_b32_e32 v4, 63, v0
	v_lshlrev_b32_e32 v0, 2, v5
	v_and_b32_e32 v5, 0x100, v0
	v_lshlrev_b32_e32 v6, 2, v4
                                        ; implicit-def: $vgpr0_vgpr1
.LBB1_1:                                ; =>This Inner Loop Header: Depth=1
	v_add_u32_e32 v7, s14, v5
	ds_bpermute_b32 v8, v7, v2
	ds_bpermute_b32 v9, v7, v3
	ds_bpermute_b32 v10, v7, v2 offset:4
	ds_bpermute_b32 v11, v7, v3 offset:4
	;; [unrolled: 1-line block ×10, first 2 shown]
	s_waitcnt lgkmcnt(10)
	v_cmp_eq_u64_e32 vcc, v[8:9], v[2:3]
	s_or_b32 s16, s15, 1
	ds_bpermute_b32 v20, v7, v2 offset:24
	ds_bpermute_b32 v21, v7, v3 offset:24
	;; [unrolled: 1-line block ×4, first 2 shown]
	s_waitcnt lgkmcnt(12)
	v_cmp_eq_u64_e64 s[0:1], v[10:11], v[2:3]
	v_mov_b32_e32 v7, vcc_lo
	v_mov_b32_e32 v8, vcc_hi
	v_cmp_eq_u32_e32 vcc, s14, v6
	s_or_b32 s17, s15, 2
	s_waitcnt lgkmcnt(10)
	v_cmp_eq_u64_e64 s[2:3], v[12:13], v[2:3]
	v_mov_b32_e32 v9, s1
	v_mov_b32_e32 v10, s0
	v_cndmask_b32_e32 v0, v0, v7, vcc
	v_cndmask_b32_e32 v1, v1, v8, vcc
	v_cmp_eq_u32_e32 vcc, s16, v4
	s_or_b32 s18, s15, 3
	s_waitcnt lgkmcnt(8)
	v_cmp_eq_u64_e64 s[4:5], v[14:15], v[2:3]
	v_mov_b32_e32 v11, s2
	v_mov_b32_e32 v12, s3
	v_cndmask_b32_e32 v1, v1, v9, vcc
	v_cndmask_b32_e32 v0, v0, v10, vcc
	;; [unrolled: 8-line block ×6, first 2 shown]
	v_cmp_eq_u32_e32 vcc, s21, v4
	s_add_i32 s15, s15, 8
	v_mov_b32_e32 v21, s13
	v_mov_b32_e32 v22, s12
	s_add_i32 s14, s14, 32
	v_cndmask_b32_e32 v0, v0, v19, vcc
	v_cndmask_b32_e32 v1, v1, v20, vcc
	v_cmp_eq_u32_e32 vcc, s22, v4
	s_cmp_eq_u32 s15, 64
	v_cndmask_b32_e32 v1, v1, v21, vcc
	v_cndmask_b32_e32 v0, v0, v22, vcc
	s_cbranch_scc0 .LBB1_1
; %bb.2:
	v_ffbl_b32_e32 v5, v1
	v_add_u32_e32 v5, 32, v5
	v_ffbl_b32_e32 v6, v0
	v_min_u32_e32 v5, v6, v5
	v_cmp_ne_u64_e32 vcc, 0, v[0:1]
	v_cmp_eq_u32_e64 s[0:1], v4, v5
	s_and_b64 s[0:1], vcc, s[0:1]
	s_and_saveexec_b64 s[2:3], s[0:1]
	s_cbranch_execz .LBB1_4
; %bb.3:
	v_bcnt_u32_b32 v0, v0, 0
	v_bcnt_u32_b32 v0, v1, v0
	global_atomic_add v[2:3], v0, off
.LBB1_4:
	s_endpgm
	.section	.rodata,"a",@progbits
	.p2align	6, 0x0
	.amdhsa_kernel _Z2k2Pii
		.amdhsa_group_segment_fixed_size 0
		.amdhsa_private_segment_fixed_size 0
		.amdhsa_kernarg_size 12
		.amdhsa_user_sgpr_count 6
		.amdhsa_user_sgpr_private_segment_buffer 1
		.amdhsa_user_sgpr_dispatch_ptr 0
		.amdhsa_user_sgpr_queue_ptr 0
		.amdhsa_user_sgpr_kernarg_segment_ptr 1
		.amdhsa_user_sgpr_dispatch_id 0
		.amdhsa_user_sgpr_flat_scratch_init 0
		.amdhsa_user_sgpr_kernarg_preload_length 0
		.amdhsa_user_sgpr_kernarg_preload_offset 0
		.amdhsa_user_sgpr_private_segment_size 0
		.amdhsa_uses_dynamic_stack 0
		.amdhsa_system_sgpr_private_segment_wavefront_offset 0
		.amdhsa_system_sgpr_workgroup_id_x 1
		.amdhsa_system_sgpr_workgroup_id_y 0
		.amdhsa_system_sgpr_workgroup_id_z 0
		.amdhsa_system_sgpr_workgroup_info 0
		.amdhsa_system_vgpr_workitem_id 0
		.amdhsa_next_free_vgpr 24
		.amdhsa_next_free_sgpr 23
		.amdhsa_accum_offset 24
		.amdhsa_reserve_vcc 1
		.amdhsa_reserve_flat_scratch 0
		.amdhsa_float_round_mode_32 0
		.amdhsa_float_round_mode_16_64 0
		.amdhsa_float_denorm_mode_32 3
		.amdhsa_float_denorm_mode_16_64 3
		.amdhsa_dx10_clamp 1
		.amdhsa_ieee_mode 1
		.amdhsa_fp16_overflow 0
		.amdhsa_tg_split 0
		.amdhsa_exception_fp_ieee_invalid_op 0
		.amdhsa_exception_fp_denorm_src 0
		.amdhsa_exception_fp_ieee_div_zero 0
		.amdhsa_exception_fp_ieee_overflow 0
		.amdhsa_exception_fp_ieee_underflow 0
		.amdhsa_exception_fp_ieee_inexact 0
		.amdhsa_exception_int_div_zero 0
	.end_amdhsa_kernel
	.text
.Lfunc_end1:
	.size	_Z2k2Pii, .Lfunc_end1-_Z2k2Pii
                                        ; -- End function
	.section	.AMDGPU.csdata,"",@progbits
; Kernel info:
; codeLenInByte = 672
; NumSgprs: 27
; NumVgprs: 24
; NumAgprs: 0
; TotalNumVgprs: 24
; ScratchSize: 0
; MemoryBound: 0
; FloatMode: 240
; IeeeMode: 1
; LDSByteSize: 0 bytes/workgroup (compile time only)
; SGPRBlocks: 3
; VGPRBlocks: 2
; NumSGPRsForWavesPerEU: 27
; NumVGPRsForWavesPerEU: 24
; AccumOffset: 24
; Occupancy: 8
; WaveLimiterHint : 0
; COMPUTE_PGM_RSRC2:SCRATCH_EN: 0
; COMPUTE_PGM_RSRC2:USER_SGPR: 6
; COMPUTE_PGM_RSRC2:TRAP_HANDLER: 0
; COMPUTE_PGM_RSRC2:TGID_X_EN: 1
; COMPUTE_PGM_RSRC2:TGID_Y_EN: 0
; COMPUTE_PGM_RSRC2:TGID_Z_EN: 0
; COMPUTE_PGM_RSRC2:TIDIG_COMP_CNT: 0
; COMPUTE_PGM_RSRC3_GFX90A:ACCUM_OFFSET: 5
; COMPUTE_PGM_RSRC3_GFX90A:TG_SPLIT: 0
	.text
	.p2alignl 6, 3212836864
	.fill 256, 4, 3212836864
	.type	__hip_cuid_3a405b09d4f7bdda,@object ; @__hip_cuid_3a405b09d4f7bdda
	.section	.bss,"aw",@nobits
	.globl	__hip_cuid_3a405b09d4f7bdda
__hip_cuid_3a405b09d4f7bdda:
	.byte	0                               ; 0x0
	.size	__hip_cuid_3a405b09d4f7bdda, 1

	.ident	"AMD clang version 19.0.0git (https://github.com/RadeonOpenCompute/llvm-project roc-6.4.0 25133 c7fe45cf4b819c5991fe208aaa96edf142730f1d)"
	.section	".note.GNU-stack","",@progbits
	.addrsig
	.addrsig_sym __hip_cuid_3a405b09d4f7bdda
	.amdgpu_metadata
---
amdhsa.kernels:
  - .agpr_count:     0
    .args:
      - .address_space:  global
        .offset:         0
        .size:           8
        .value_kind:     global_buffer
      - .offset:         8
        .size:           4
        .value_kind:     by_value
    .group_segment_fixed_size: 0
    .kernarg_segment_align: 8
    .kernarg_segment_size: 12
    .language:       OpenCL C
    .language_version:
      - 2
      - 0
    .max_flat_workgroup_size: 1024
    .name:           _Z1kPii
    .private_segment_fixed_size: 0
    .sgpr_count:     10
    .sgpr_spill_count: 0
    .symbol:         _Z1kPii.kd
    .uniform_work_group_size: 1
    .uses_dynamic_stack: false
    .vgpr_count:     10
    .vgpr_spill_count: 0
    .wavefront_size: 64
  - .agpr_count:     0
    .args:
      - .address_space:  global
        .offset:         0
        .size:           8
        .value_kind:     global_buffer
      - .offset:         8
        .size:           4
        .value_kind:     by_value
    .group_segment_fixed_size: 0
    .kernarg_segment_align: 8
    .kernarg_segment_size: 12
    .language:       OpenCL C
    .language_version:
      - 2
      - 0
    .max_flat_workgroup_size: 1024
    .name:           _Z2k2Pii
    .private_segment_fixed_size: 0
    .sgpr_count:     27
    .sgpr_spill_count: 0
    .symbol:         _Z2k2Pii.kd
    .uniform_work_group_size: 1
    .uses_dynamic_stack: false
    .vgpr_count:     24
    .vgpr_spill_count: 0
    .wavefront_size: 64
amdhsa.target:   amdgcn-amd-amdhsa--gfx90a
amdhsa.version:
  - 1
  - 2
...

	.end_amdgpu_metadata
